;; amdgpu-corpus repo=ROCm/rocFFT kind=compiled arch=gfx1030 opt=O3
	.text
	.amdgcn_target "amdgcn-amd-amdhsa--gfx1030"
	.amdhsa_code_object_version 6
	.protected	fft_rtc_back_len189_factors_7_3_3_3_wgs_63_tpt_21_half_ip_CI_unitstride_sbrr_dirReg ; -- Begin function fft_rtc_back_len189_factors_7_3_3_3_wgs_63_tpt_21_half_ip_CI_unitstride_sbrr_dirReg
	.globl	fft_rtc_back_len189_factors_7_3_3_3_wgs_63_tpt_21_half_ip_CI_unitstride_sbrr_dirReg
	.p2align	8
	.type	fft_rtc_back_len189_factors_7_3_3_3_wgs_63_tpt_21_half_ip_CI_unitstride_sbrr_dirReg,@function
fft_rtc_back_len189_factors_7_3_3_3_wgs_63_tpt_21_half_ip_CI_unitstride_sbrr_dirReg: ; @fft_rtc_back_len189_factors_7_3_3_3_wgs_63_tpt_21_half_ip_CI_unitstride_sbrr_dirReg
; %bb.0:
	s_load_dwordx4 s[8:11], s[4:5], 0x0
	v_mul_u32_u24_e32 v1, 0xc31, v0
	s_clause 0x1
	s_load_dwordx2 s[2:3], s[4:5], 0x50
	s_load_dwordx2 s[12:13], s[4:5], 0x18
	v_mov_b32_e32 v5, 0
	v_mov_b32_e32 v3, 0
	;; [unrolled: 1-line block ×3, first 2 shown]
	v_lshrrev_b32_e32 v1, 16, v1
	v_mad_u64_u32 v[1:2], null, s6, 3, v[1:2]
	v_mov_b32_e32 v2, v5
	v_mov_b32_e32 v10, v2
	;; [unrolled: 1-line block ×3, first 2 shown]
	s_waitcnt lgkmcnt(0)
	v_cmp_lt_u64_e64 s0, s[10:11], 2
	s_and_b32 vcc_lo, exec_lo, s0
	s_cbranch_vccnz .LBB0_8
; %bb.1:
	s_load_dwordx2 s[0:1], s[4:5], 0x10
	v_mov_b32_e32 v3, 0
	v_mov_b32_e32 v8, v2
	s_add_u32 s6, s12, 8
	v_mov_b32_e32 v4, 0
	v_mov_b32_e32 v7, v1
	s_addc_u32 s7, s13, 0
	s_mov_b64 s[16:17], 1
	s_waitcnt lgkmcnt(0)
	s_add_u32 s14, s0, 8
	s_addc_u32 s15, s1, 0
.LBB0_2:                                ; =>This Inner Loop Header: Depth=1
	s_load_dwordx2 s[18:19], s[14:15], 0x0
                                        ; implicit-def: $vgpr9_vgpr10
	s_mov_b32 s0, exec_lo
	s_waitcnt lgkmcnt(0)
	v_or_b32_e32 v6, s19, v8
	v_cmpx_ne_u64_e32 0, v[5:6]
	s_xor_b32 s1, exec_lo, s0
	s_cbranch_execz .LBB0_4
; %bb.3:                                ;   in Loop: Header=BB0_2 Depth=1
	v_cvt_f32_u32_e32 v2, s18
	v_cvt_f32_u32_e32 v6, s19
	s_sub_u32 s0, 0, s18
	s_subb_u32 s20, 0, s19
	v_fmac_f32_e32 v2, 0x4f800000, v6
	v_rcp_f32_e32 v2, v2
	v_mul_f32_e32 v2, 0x5f7ffffc, v2
	v_mul_f32_e32 v6, 0x2f800000, v2
	v_trunc_f32_e32 v6, v6
	v_fmac_f32_e32 v2, 0xcf800000, v6
	v_cvt_u32_f32_e32 v6, v6
	v_cvt_u32_f32_e32 v2, v2
	v_mul_lo_u32 v9, s0, v6
	v_mul_hi_u32 v10, s0, v2
	v_mul_lo_u32 v11, s20, v2
	v_add_nc_u32_e32 v9, v10, v9
	v_mul_lo_u32 v10, s0, v2
	v_add_nc_u32_e32 v9, v9, v11
	v_mul_hi_u32 v11, v2, v10
	v_mul_lo_u32 v12, v2, v9
	v_mul_hi_u32 v13, v2, v9
	v_mul_hi_u32 v14, v6, v10
	v_mul_lo_u32 v10, v6, v10
	v_mul_hi_u32 v15, v6, v9
	v_mul_lo_u32 v9, v6, v9
	v_add_co_u32 v11, vcc_lo, v11, v12
	v_add_co_ci_u32_e32 v12, vcc_lo, 0, v13, vcc_lo
	v_add_co_u32 v10, vcc_lo, v11, v10
	v_add_co_ci_u32_e32 v10, vcc_lo, v12, v14, vcc_lo
	v_add_co_ci_u32_e32 v11, vcc_lo, 0, v15, vcc_lo
	v_add_co_u32 v9, vcc_lo, v10, v9
	v_add_co_ci_u32_e32 v10, vcc_lo, 0, v11, vcc_lo
	v_add_co_u32 v2, vcc_lo, v2, v9
	v_add_co_ci_u32_e32 v6, vcc_lo, v6, v10, vcc_lo
	v_mul_hi_u32 v9, s0, v2
	v_mul_lo_u32 v11, s20, v2
	v_mul_lo_u32 v10, s0, v6
	v_add_nc_u32_e32 v9, v9, v10
	v_mul_lo_u32 v10, s0, v2
	v_add_nc_u32_e32 v9, v9, v11
	v_mul_hi_u32 v11, v2, v10
	v_mul_lo_u32 v12, v2, v9
	v_mul_hi_u32 v13, v2, v9
	v_mul_hi_u32 v14, v6, v10
	v_mul_lo_u32 v10, v6, v10
	v_mul_hi_u32 v15, v6, v9
	v_mul_lo_u32 v9, v6, v9
	v_add_co_u32 v11, vcc_lo, v11, v12
	v_add_co_ci_u32_e32 v12, vcc_lo, 0, v13, vcc_lo
	v_add_co_u32 v10, vcc_lo, v11, v10
	v_add_co_ci_u32_e32 v10, vcc_lo, v12, v14, vcc_lo
	v_add_co_ci_u32_e32 v11, vcc_lo, 0, v15, vcc_lo
	v_add_co_u32 v9, vcc_lo, v10, v9
	v_add_co_ci_u32_e32 v10, vcc_lo, 0, v11, vcc_lo
	v_add_co_u32 v2, vcc_lo, v2, v9
	v_add_co_ci_u32_e32 v6, vcc_lo, v6, v10, vcc_lo
	v_mul_hi_u32 v15, v7, v2
	v_mad_u64_u32 v[11:12], null, v8, v2, 0
	v_mad_u64_u32 v[9:10], null, v7, v6, 0
	v_mad_u64_u32 v[13:14], null, v8, v6, 0
	v_add_co_u32 v2, vcc_lo, v15, v9
	v_add_co_ci_u32_e32 v6, vcc_lo, 0, v10, vcc_lo
	v_add_co_u32 v2, vcc_lo, v2, v11
	v_add_co_ci_u32_e32 v2, vcc_lo, v6, v12, vcc_lo
	v_add_co_ci_u32_e32 v6, vcc_lo, 0, v14, vcc_lo
	v_add_co_u32 v2, vcc_lo, v2, v13
	v_add_co_ci_u32_e32 v6, vcc_lo, 0, v6, vcc_lo
	v_mul_lo_u32 v11, s19, v2
	v_mad_u64_u32 v[9:10], null, s18, v2, 0
	v_mul_lo_u32 v12, s18, v6
	v_sub_co_u32 v9, vcc_lo, v7, v9
	v_add3_u32 v10, v10, v12, v11
	v_sub_nc_u32_e32 v11, v8, v10
	v_subrev_co_ci_u32_e64 v11, s0, s19, v11, vcc_lo
	v_add_co_u32 v12, s0, v2, 2
	v_add_co_ci_u32_e64 v13, s0, 0, v6, s0
	v_sub_co_u32 v14, s0, v9, s18
	v_sub_co_ci_u32_e32 v10, vcc_lo, v8, v10, vcc_lo
	v_subrev_co_ci_u32_e64 v11, s0, 0, v11, s0
	v_cmp_le_u32_e32 vcc_lo, s18, v14
	v_cmp_eq_u32_e64 s0, s19, v10
	v_cndmask_b32_e64 v14, 0, -1, vcc_lo
	v_cmp_le_u32_e32 vcc_lo, s19, v11
	v_cndmask_b32_e64 v15, 0, -1, vcc_lo
	v_cmp_le_u32_e32 vcc_lo, s18, v9
	;; [unrolled: 2-line block ×3, first 2 shown]
	v_cndmask_b32_e64 v16, 0, -1, vcc_lo
	v_cmp_eq_u32_e32 vcc_lo, s19, v11
	v_cndmask_b32_e64 v9, v16, v9, s0
	v_cndmask_b32_e32 v11, v15, v14, vcc_lo
	v_add_co_u32 v14, vcc_lo, v2, 1
	v_add_co_ci_u32_e32 v15, vcc_lo, 0, v6, vcc_lo
	v_cmp_ne_u32_e32 vcc_lo, 0, v11
	v_cndmask_b32_e32 v10, v15, v13, vcc_lo
	v_cndmask_b32_e32 v11, v14, v12, vcc_lo
	v_cmp_ne_u32_e32 vcc_lo, 0, v9
	v_cndmask_b32_e32 v10, v6, v10, vcc_lo
	v_cndmask_b32_e32 v9, v2, v11, vcc_lo
.LBB0_4:                                ;   in Loop: Header=BB0_2 Depth=1
	s_andn2_saveexec_b32 s0, s1
	s_cbranch_execz .LBB0_6
; %bb.5:                                ;   in Loop: Header=BB0_2 Depth=1
	v_cvt_f32_u32_e32 v2, s18
	s_sub_i32 s1, 0, s18
	v_rcp_iflag_f32_e32 v2, v2
	v_mul_f32_e32 v2, 0x4f7ffffe, v2
	v_cvt_u32_f32_e32 v2, v2
	v_mul_lo_u32 v6, s1, v2
	v_mul_hi_u32 v6, v2, v6
	v_add_nc_u32_e32 v2, v2, v6
	v_mul_hi_u32 v2, v7, v2
	v_mul_lo_u32 v6, v2, s18
	v_add_nc_u32_e32 v9, 1, v2
	v_sub_nc_u32_e32 v6, v7, v6
	v_subrev_nc_u32_e32 v10, s18, v6
	v_cmp_le_u32_e32 vcc_lo, s18, v6
	v_cndmask_b32_e32 v6, v6, v10, vcc_lo
	v_cndmask_b32_e32 v2, v2, v9, vcc_lo
	v_mov_b32_e32 v10, v5
	v_cmp_le_u32_e32 vcc_lo, s18, v6
	v_add_nc_u32_e32 v9, 1, v2
	v_cndmask_b32_e32 v9, v2, v9, vcc_lo
.LBB0_6:                                ;   in Loop: Header=BB0_2 Depth=1
	s_or_b32 exec_lo, exec_lo, s0
	s_load_dwordx2 s[0:1], s[6:7], 0x0
	v_mul_lo_u32 v2, v10, s18
	v_mul_lo_u32 v6, v9, s19
	v_mad_u64_u32 v[11:12], null, v9, s18, 0
	s_add_u32 s16, s16, 1
	s_addc_u32 s17, s17, 0
	s_add_u32 s6, s6, 8
	s_addc_u32 s7, s7, 0
	;; [unrolled: 2-line block ×3, first 2 shown]
	v_add3_u32 v2, v12, v6, v2
	v_sub_co_u32 v6, vcc_lo, v7, v11
	v_sub_co_ci_u32_e32 v2, vcc_lo, v8, v2, vcc_lo
	s_waitcnt lgkmcnt(0)
	v_mul_lo_u32 v7, s1, v6
	v_mul_lo_u32 v2, s0, v2
	v_mad_u64_u32 v[3:4], null, s0, v6, v[3:4]
	v_cmp_ge_u64_e64 s0, s[16:17], s[10:11]
	s_and_b32 vcc_lo, exec_lo, s0
	v_add3_u32 v4, v7, v4, v2
	s_cbranch_vccnz .LBB0_8
; %bb.7:                                ;   in Loop: Header=BB0_2 Depth=1
	v_mov_b32_e32 v7, v9
	v_mov_b32_e32 v8, v10
	s_branch .LBB0_2
.LBB0_8:
	s_lshl_b64 s[0:1], s[10:11], 3
	v_mul_hi_u32 v2, 0xaaaaaaab, v1
	s_add_u32 s0, s12, s0
	s_addc_u32 s1, s13, s1
	v_mul_hi_u32 v5, 0xc30c30d, v0
	s_load_dwordx2 s[0:1], s[0:1], 0x0
	s_load_dwordx2 s[4:5], s[4:5], 0x20
	v_lshrrev_b32_e32 v6, 1, v2
	v_mul_u32_u24_e32 v5, 21, v5
	v_sub_nc_u32_e32 v0, v0, v5
	v_add_nc_u32_e32 v18, 21, v0
	s_waitcnt lgkmcnt(0)
	v_mul_lo_u32 v7, s0, v10
	v_mul_lo_u32 v8, s1, v9
	v_mad_u64_u32 v[2:3], null, s0, v9, v[3:4]
	v_lshl_add_u32 v4, v6, 1, v6
	v_cmp_gt_u64_e32 vcc_lo, s[4:5], v[9:10]
	v_cmp_le_u64_e64 s0, s[4:5], v[9:10]
	v_sub_nc_u32_e32 v1, v1, v4
	v_add3_u32 v3, v8, v3, v7
	s_and_saveexec_b32 s1, s0
	s_xor_b32 s0, exec_lo, s1
; %bb.9:
	v_add_nc_u32_e32 v18, 21, v0
; %bb.10:
	s_or_saveexec_b32 s1, s0
	v_mul_u32_u24_e32 v1, 0xbd, v1
	v_lshlrev_b64 v[2:3], 2, v[2:3]
	v_lshlrev_b32_e32 v16, 2, v0
	v_lshlrev_b32_e32 v17, 2, v1
	s_xor_b32 exec_lo, exec_lo, s1
	s_cbranch_execz .LBB0_12
; %bb.11:
	v_mov_b32_e32 v1, 0
	v_lshlrev_b64 v[4:5], 2, v[0:1]
	v_add_co_u32 v1, s0, s2, v2
	v_add_co_ci_u32_e64 v6, s0, s3, v3, s0
	v_add_co_u32 v4, s0, v1, v4
	v_add_co_ci_u32_e64 v5, s0, v6, v5, s0
	s_clause 0x8
	global_load_dword v1, v[4:5], off
	global_load_dword v6, v[4:5], off offset:84
	global_load_dword v7, v[4:5], off offset:168
	;; [unrolled: 1-line block ×8, first 2 shown]
	v_add3_u32 v5, 0, v17, v16
	s_waitcnt vmcnt(7)
	ds_write2_b32 v5, v1, v6 offset1:21
	s_waitcnt vmcnt(5)
	ds_write2_b32 v5, v7, v8 offset0:42 offset1:63
	s_waitcnt vmcnt(3)
	ds_write2_b32 v5, v9, v10 offset0:84 offset1:105
	;; [unrolled: 2-line block ×3, first 2 shown]
	s_waitcnt vmcnt(0)
	ds_write_b32 v5, v4 offset:672
.LBB0_12:
	s_or_b32 exec_lo, exec_lo, s1
	v_add_nc_u32_e32 v1, 0, v16
	s_waitcnt lgkmcnt(0)
	s_barrier
	buffer_gl0_inv
	v_add3_u32 v16, 0, v17, v16
	v_add_nc_u32_e32 v1, v1, v17
	v_cmp_gt_u32_e64 s0, 6, v0
	ds_read2_b32 v[4:5], v1 offset0:21 offset1:27
	ds_read2_b32 v[8:9], v1 offset0:48 offset1:54
	;; [unrolled: 1-line block ×6, first 2 shown]
	ds_read_b32 v19, v1 offset:732
	ds_read_b32 v21, v16
	v_mad_u32_u24 v20, v0, 24, v1
	s_waitcnt lgkmcnt(0)
	s_barrier
	buffer_gl0_inv
	v_pk_add_f16 v22, v5, v11
	v_pk_add_f16 v23, v9, v13
	v_pk_add_f16 v24, v7, v15
	v_pk_add_f16 v9, v9, v13 neg_lo:[0,1] neg_hi:[0,1]
	v_pk_add_f16 v7, v15, v7 neg_lo:[0,1] neg_hi:[0,1]
	;; [unrolled: 1-line block ×3, first 2 shown]
	v_pk_add_f16 v11, v23, v22
	v_pk_add_f16 v13, v23, v22 neg_lo:[0,1] neg_hi:[0,1]
	v_pk_add_f16 v15, v22, v24 neg_lo:[0,1] neg_hi:[0,1]
	v_pk_add_f16 v22, v7, v9
	v_pk_add_f16 v25, v5, v7 neg_lo:[0,1] neg_hi:[0,1]
	v_pk_add_f16 v26, v9, v5 neg_lo:[0,1] neg_hi:[0,1]
	v_pk_add_f16 v7, v7, v9 neg_lo:[0,1] neg_hi:[0,1]
	v_pk_add_f16 v9, v24, v11
	v_pk_add_f16 v23, v24, v23 neg_lo:[0,1] neg_hi:[0,1]
	v_pk_mul_f16 v11, 0x3a52, v15 op_sel_hi:[0,1]
	v_pk_mul_f16 v13, 0x39e0, v13 op_sel_hi:[0,1]
	;; [unrolled: 1-line block ×3, first 2 shown]
	v_pk_add_f16 v21, v21, v9
	v_pk_add_f16 v5, v22, v5
	v_pk_mul_f16 v22, 0xb574, v25 op_sel_hi:[0,1]
	v_pk_add_f16 v24, v11, v13 op_sel:[1,1] op_sel_hi:[0,0] neg_lo:[1,1] neg_hi:[1,1]
	v_pk_fma_f16 v25, 0xb574, v25, v15 op_sel_hi:[0,1,1] neg_lo:[0,1,1] neg_hi:[0,1,1]
	v_pk_fma_f16 v13, 0x2b26, v23, v13 op_sel_hi:[0,1,1] neg_lo:[0,1,0] neg_hi:[0,1,0]
	v_pk_fma_f16 v9, 0xbcab, v9, v21 op_sel_hi:[0,1,1]
	v_pk_fma_f16 v15, 0x3846, v7, v15 op_sel_hi:[0,1,1] neg_lo:[0,1,0] neg_hi:[0,1,0]
	v_pk_fma_f16 v11, 0x2b26, v23, v11 op_sel_hi:[0,1,1]
	v_pk_fma_f16 v7, 0x3846, v7, v22 op_sel_hi:[0,1,1]
	;; [unrolled: 1-line block ×3, first 2 shown]
	v_pk_add_f16 v23, v24, v9 op_sel:[0,1] op_sel_hi:[1,0]
	v_pk_fma_f16 v15, 0xb70e, v5, v15 op_sel_hi:[0,1,1]
	v_pk_add_f16 v13, v13, v9
	v_pk_fma_f16 v5, 0xb70e, v5, v7 op_sel_hi:[0,1,1]
	v_pk_add_f16 v7, v11, v9
	v_pk_add_f16 v9, v23, v22
	v_pk_add_f16 v11, v23, v22 neg_lo:[0,1] neg_hi:[0,1]
	v_pk_add_f16 v22, v13, v15 op_sel:[0,1] op_sel_hi:[1,0] neg_lo:[0,1] neg_hi:[0,1]
	v_pk_add_f16 v13, v13, v15 op_sel:[0,1] op_sel_hi:[1,0]
	v_pk_add_f16 v15, v7, v5 op_sel:[0,1] op_sel_hi:[1,0]
	v_pk_add_f16 v5, v7, v5 op_sel:[0,1] op_sel_hi:[1,0] neg_lo:[0,1] neg_hi:[0,1]
	v_alignbit_b32 v7, v11, v9, 16
	v_alignbit_b32 v9, v9, v11, 16
	v_bfi_b32 v23, 0xffff, v22, v13
	v_bfi_b32 v13, 0xffff, v13, v22
	;; [unrolled: 1-line block ×4, first 2 shown]
	ds_write2_b32 v20, v7, v23 offset0:2 offset1:3
	ds_write2_b32 v20, v13, v9 offset0:4 offset1:5
	ds_write2_b32 v20, v21, v11 offset1:1
	ds_write_b32 v20, v5 offset:24
	s_and_saveexec_b32 s1, s0
	s_cbranch_execz .LBB0_14
; %bb.13:
	v_pk_add_f16 v5, v8, v19
	v_pk_add_f16 v9, v6, v10
	v_pk_add_f16 v8, v8, v19 neg_lo:[0,1] neg_hi:[0,1]
	v_pk_add_f16 v11, v12, v14 neg_lo:[0,1] neg_hi:[0,1]
	;; [unrolled: 1-line block ×3, first 2 shown]
	v_pk_add_f16 v7, v14, v12
	v_pk_add_f16 v12, v9, v5
	v_mul_i32_i24_e32 v10, 28, v18
	v_alignbit_b32 v14, v8, v11, 16
	v_alignbit_b32 v15, v11, v6, 16
	v_bfi_b32 v13, 0xffff, v5, v7
	v_bfi_b32 v19, 0xffff, v7, v5
	;; [unrolled: 1-line block ×3, first 2 shown]
	v_alignbit_b32 v21, v11, v8, 16
	v_alignbit_b32 v22, v6, v11, 16
	v_pk_add_f16 v14, v14, v15 neg_lo:[0,1] neg_hi:[0,1]
	v_bfi_b32 v15, 0xffff, v7, v9
	v_pk_add_f16 v19, v19, v20 neg_lo:[0,1] neg_hi:[0,1]
	v_pk_add_f16 v7, v7, v12
	v_pk_add_f16 v20, v21, v22 neg_lo:[0,1] neg_hi:[0,1]
	v_pk_mul_f16 v14, 0xb5743846, v14
	v_pk_add_f16 v12, v13, v15 neg_lo:[0,1] neg_hi:[0,1]
	v_pk_add_f16 v11, v11, v6
	v_pk_mul_f16 v13, 0x3a522b26, v19
	v_pk_add_f16 v4, v4, v7
	v_pk_fma_f16 v15, 0x3846b574, v20, v14
	v_pk_mul_f16 v21, 0x2b263a52, v12
	v_pk_mul_f16 v20, 0x3846b574, v20
	v_pk_add_f16 v11, v11, v8
	v_pk_fma_f16 v12, 0x2b263a52, v12, v13
	v_pk_add_f16 v5, v9, v5 neg_lo:[0,1] neg_hi:[0,1]
	v_pk_add_f16 v6, v6, v8 neg_lo:[0,1] neg_hi:[0,1]
	v_alignbit_b32 v8, v20, v14, 16
	v_bfi_b32 v9, 0xffff, v21, v13
	v_alignbit_b32 v14, v14, v20, 16
	v_bfi_b32 v13, 0xffff, v13, v21
	v_pk_mul_f16 v19, 0xb70e, v11 op_sel_hi:[0,1]
	v_pk_fma_f16 v7, 0xbcab, v7, v4 op_sel_hi:[0,1,1]
	v_pk_fma_f16 v8, 0xbb00, v6, v8 op_sel_hi:[0,1,1] neg_lo:[0,1,1] neg_hi:[0,1,1]
	v_pk_fma_f16 v9, 0x39e0, v5, v9 op_sel_hi:[0,1,1] neg_lo:[0,1,1] neg_hi:[0,1,1]
	;; [unrolled: 1-line block ×4, first 2 shown]
	v_pk_add_f16 v15, v19, v15 op_sel:[1,0] op_sel_hi:[0,1]
	v_pk_add_f16 v12, v12, v7
	v_pk_fma_f16 v8, 0xb70e, v11, v8 op_sel_hi:[0,1,1]
	v_pk_add_f16 v9, v9, v7
	v_pk_fma_f16 v6, 0xb70e, v11, v6 op_sel_hi:[0,1,1]
	v_pk_add_f16 v5, v5, v7
	v_pk_add_f16 v7, v12, v15
	v_pk_add_f16 v11, v12, v15 neg_lo:[0,1] neg_hi:[0,1]
	v_pk_add_f16 v12, v9, v8 op_sel:[0,1] op_sel_hi:[1,0]
	v_pk_add_f16 v8, v9, v8 op_sel:[0,1] op_sel_hi:[1,0] neg_lo:[0,1] neg_hi:[0,1]
	v_pk_add_f16 v9, v5, v6 op_sel:[0,1] op_sel_hi:[1,0] neg_lo:[0,1] neg_hi:[0,1]
	v_pk_add_f16 v5, v5, v6 op_sel:[0,1] op_sel_hi:[1,0]
	v_add3_u32 v6, 0, v10, v17
	v_bfi_b32 v10, 0xffff, v7, v11
	v_bfi_b32 v13, 0xffff, v12, v8
	;; [unrolled: 1-line block ×6, first 2 shown]
	ds_write2_b32 v6, v4, v10 offset1:1
	ds_write2_b32 v6, v13, v14 offset0:2 offset1:3
	ds_write2_b32 v6, v5, v8 offset0:4 offset1:5
	ds_write_b32 v6, v7 offset:24
.LBB0_14:
	s_or_b32 exec_lo, exec_lo, s1
	v_and_b32_e32 v4, 0xff, v0
	v_add_nc_u32_e32 v15, 42, v0
	v_and_b32_e32 v5, 0xff, v18
	v_mov_b32_e32 v27, 3
	s_waitcnt lgkmcnt(0)
	v_mul_lo_u16 v4, v4, 37
	v_and_b32_e32 v6, 0xff, v15
	v_mul_lo_u16 v5, v5, 37
	s_barrier
	buffer_gl0_inv
	v_lshrrev_b16 v4, 8, v4
	v_mul_lo_u16 v8, v6, 37
	v_lshrrev_b16 v5, 8, v5
	v_mov_b32_e32 v35, 2
	v_sub_nc_u16 v7, v0, v4
	v_lshrrev_b16 v8, 8, v8
	v_sub_nc_u16 v9, v18, v5
	v_lshrrev_b16 v7, 1, v7
	;; [unrolled: 2-line block ×3, first 2 shown]
	v_and_b32_e32 v7, 0x7f, v7
	v_and_b32_e32 v9, 0x7f, v9
	v_add_nc_u16 v4, v7, v4
	v_lshrrev_b16 v7, 1, v10
	v_add_nc_u16 v5, v9, v5
	v_lshrrev_b16 v25, 2, v4
	v_and_b32_e32 v4, 0x7f, v7
	v_lshrrev_b16 v26, 2, v5
	v_mul_lo_u16 v5, v25, 7
	v_add_nc_u16 v4, v4, v8
	v_mul_lo_u16 v7, v26, 7
	v_and_b32_e32 v25, 0xffff, v25
	v_and_b32_e32 v26, 0xffff, v26
	v_sub_nc_u16 v28, v0, v5
	v_lshrrev_b16 v29, 2, v4
	v_sub_nc_u16 v30, v18, v7
	v_mad_u32_u24 v25, 0x54, v25, 0
	v_mad_u32_u24 v26, 0x54, v26, 0
	v_lshlrev_b32_sdwa v4, v27, v28 dst_sel:DWORD dst_unused:UNUSED_PAD src0_sel:DWORD src1_sel:BYTE_0
	v_mul_lo_u16 v5, v29, 7
	v_lshlrev_b32_sdwa v9, v27, v30 dst_sel:DWORD dst_unused:UNUSED_PAD src0_sel:DWORD src1_sel:BYTE_0
	v_and_b32_e32 v29, 0xffff, v29
	v_lshlrev_b32_sdwa v28, v35, v28 dst_sel:DWORD dst_unused:UNUSED_PAD src0_sel:DWORD src1_sel:BYTE_0
	s_clause 0x1
	global_load_dwordx2 v[7:8], v4, s[8:9]
	global_load_dwordx2 v[9:10], v9, s[8:9]
	v_sub_nc_u16 v31, v15, v5
	v_mul_lo_u16 v5, 0x87, v6
	v_lshlrev_b32_e32 v6, 2, v18
	v_lshlrev_b32_sdwa v30, v35, v30 dst_sel:DWORD dst_unused:UNUSED_PAD src0_sel:DWORD src1_sel:BYTE_0
	v_mad_u32_u24 v29, 0x54, v29, 0
	v_lshlrev_b32_sdwa v4, v27, v31 dst_sel:DWORD dst_unused:UNUSED_PAD src0_sel:DWORD src1_sel:BYTE_0
	v_lshrrev_b16 v33, 8, v5
	v_mov_b32_e32 v5, 0
	v_add3_u32 v6, 0, v6, v17
	v_add3_u32 v25, v25, v28, v17
	global_load_dwordx2 v[11:12], v4, s[8:9]
	v_sub_nc_u16 v34, v15, v33
	ds_read_b32 v32, v16
	ds_read2_b32 v[13:14], v1 offset0:42 offset1:63
	ds_read2_b32 v[19:20], v1 offset0:126 offset1:147
	;; [unrolled: 1-line block ×3, first 2 shown]
	v_lshlrev_b32_e32 v4, 1, v0
	v_lshrrev_b16 v34, 1, v34
	ds_read_b32 v36, v1 offset:672
	v_lshlrev_b32_sdwa v28, v35, v31 dst_sel:DWORD dst_unused:UNUSED_PAD src0_sel:DWORD src1_sel:BYTE_0
	v_add3_u32 v26, v26, v30, v17
	v_lshlrev_b64 v[23:24], 2, v[4:5]
	v_and_b32_e32 v34, 0x7f, v34
	ds_read_b32 v4, v6
	v_add3_u32 v28, v29, v28, v17
	s_waitcnt vmcnt(0) lgkmcnt(0)
	s_barrier
	v_add_nc_u16 v33, v34, v33
	v_add_co_u32 v23, s0, s8, v23
	v_add_co_ci_u32_e64 v24, s0, s9, v24, s0
	v_lshrrev_b16 v33, 4, v33
	v_lshrrev_b32_e32 v39, 16, v14
	v_lshrrev_b32_e32 v40, 16, v19
	v_lshrrev_b32_e32 v34, 16, v21
	v_lshrrev_b32_e32 v41, 16, v20
	v_and_b32_e32 v33, 15, v33
	v_lshrrev_b32_e32 v42, 16, v22
	v_lshrrev_b32_e32 v44, 16, v36
	;; [unrolled: 1-line block ×4, first 2 shown]
	v_mul_lo_u16 v33, v33, 21
	v_lshrrev_b32_e32 v43, 16, v4
	buffer_gl0_inv
	v_sub_nc_u16 v30, v15, v33
	v_mul_f16_sdwa v29, v7, v39 dst_sel:DWORD dst_unused:UNUSED_PAD src0_sel:WORD_1 src1_sel:DWORD
	v_mul_f16_sdwa v31, v7, v14 dst_sel:DWORD dst_unused:UNUSED_PAD src0_sel:WORD_1 src1_sel:DWORD
	v_mul_f16_sdwa v33, v8, v40 dst_sel:DWORD dst_unused:UNUSED_PAD src0_sel:WORD_1 src1_sel:DWORD
	v_mul_f16_sdwa v45, v8, v19 dst_sel:DWORD dst_unused:UNUSED_PAD src0_sel:WORD_1 src1_sel:DWORD
	v_mul_f16_sdwa v46, v9, v34 dst_sel:DWORD dst_unused:UNUSED_PAD src0_sel:WORD_1 src1_sel:DWORD
	v_mul_f16_sdwa v48, v10, v41 dst_sel:DWORD dst_unused:UNUSED_PAD src0_sel:WORD_1 src1_sel:DWORD
	v_mul_f16_sdwa v47, v9, v21 dst_sel:DWORD dst_unused:UNUSED_PAD src0_sel:WORD_1 src1_sel:DWORD
	v_mul_f16_sdwa v49, v10, v20 dst_sel:DWORD dst_unused:UNUSED_PAD src0_sel:WORD_1 src1_sel:DWORD
	v_fmac_f16_e32 v29, v7, v14
	v_fma_f16 v7, v7, v39, -v31
	v_fmac_f16_e32 v33, v8, v19
	v_fma_f16 v8, v8, v40, -v45
	v_fmac_f16_e32 v46, v9, v21
	v_fmac_f16_e32 v48, v10, v20
	v_mul_f16_sdwa v14, v11, v42 dst_sel:DWORD dst_unused:UNUSED_PAD src0_sel:WORD_1 src1_sel:DWORD
	v_mul_f16_sdwa v19, v11, v22 dst_sel:DWORD dst_unused:UNUSED_PAD src0_sel:WORD_1 src1_sel:DWORD
	v_mul_f16_sdwa v20, v44, v12 dst_sel:DWORD dst_unused:UNUSED_PAD src0_sel:DWORD src1_sel:WORD_1
	v_mul_f16_sdwa v21, v36, v12 dst_sel:DWORD dst_unused:UNUSED_PAD src0_sel:DWORD src1_sel:WORD_1
	v_fma_f16 v9, v9, v34, -v47
	v_fma_f16 v10, v10, v41, -v49
	v_fmac_f16_e32 v14, v11, v22
	v_fma_f16 v11, v11, v42, -v19
	v_fmac_f16_e32 v20, v36, v12
	v_fma_f16 v12, v44, v12, -v21
	v_add_f16_e32 v19, v32, v29
	v_add_f16_e32 v21, v29, v33
	v_sub_f16_e32 v22, v7, v8
	v_add_f16_e32 v31, v37, v7
	v_add_f16_e32 v7, v7, v8
	;; [unrolled: 1-line block ×3, first 2 shown]
	v_sub_f16_e32 v39, v9, v10
	v_add_f16_e32 v40, v43, v9
	v_add_f16_e32 v9, v9, v10
	v_sub_f16_e32 v29, v29, v33
	v_add_f16_e32 v34, v4, v46
	v_add_f16_e32 v19, v19, v33
	v_fmac_f16_e32 v32, -0.5, v21
	v_add_f16_e32 v8, v31, v8
	v_fmac_f16_e32 v37, -0.5, v7
	v_add_f16_e32 v21, v14, v20
	v_sub_f16_e32 v31, v11, v12
	v_add_f16_e32 v33, v38, v11
	v_add_f16_e32 v11, v11, v12
	v_sub_f16_e32 v41, v46, v48
	v_fmac_f16_e32 v4, -0.5, v36
	v_fmac_f16_e32 v43, -0.5, v9
	v_add_f16_e32 v7, v34, v48
	v_add_f16_e32 v10, v40, v10
	;; [unrolled: 1-line block ×3, first 2 shown]
	v_sub_f16_e32 v14, v14, v20
	v_fmamk_f16 v34, v22, 0xbaee, v32
	v_fmac_f16_e32 v32, 0x3aee, v22
	v_fmamk_f16 v22, v29, 0x3aee, v37
	v_fmac_f16_e32 v13, -0.5, v21
	v_fmac_f16_e32 v38, -0.5, v11
	v_fmac_f16_e32 v37, 0xbaee, v29
	v_fmamk_f16 v29, v39, 0xbaee, v4
	v_fmamk_f16 v36, v41, 0x3aee, v43
	v_fmac_f16_e32 v4, 0x3aee, v39
	v_fmac_f16_e32 v43, 0xbaee, v41
	v_add_f16_e32 v9, v9, v20
	v_add_f16_e32 v12, v33, v12
	v_pack_b32_f16 v8, v19, v8
	v_pack_b32_f16 v7, v7, v10
	v_fmamk_f16 v10, v31, 0xbaee, v13
	v_fmamk_f16 v11, v14, 0x3aee, v38
	v_fmac_f16_e32 v38, 0xbaee, v14
	v_pack_b32_f16 v14, v34, v22
	v_fmac_f16_e32 v13, 0x3aee, v31
	v_pack_b32_f16 v19, v32, v37
	v_pack_b32_f16 v20, v29, v36
	;; [unrolled: 1-line block ×4, first 2 shown]
	ds_write2_b32 v25, v8, v14 offset1:7
	v_pack_b32_f16 v8, v10, v11
	v_pack_b32_f16 v10, v13, v38
	ds_write_b32 v25, v19 offset:56
	ds_write2_b32 v26, v7, v20 offset1:7
	ds_write_b32 v26, v4 offset:56
	ds_write2_b32 v28, v9, v8 offset1:7
	ds_write_b32 v28, v10 offset:56
	v_lshlrev_b32_sdwa v4, v27, v30 dst_sel:DWORD dst_unused:UNUSED_PAD src0_sel:DWORD src1_sel:BYTE_0
	s_waitcnt lgkmcnt(0)
	s_barrier
	buffer_gl0_inv
	s_clause 0x1
	global_load_dwordx2 v[7:8], v[23:24], off offset:56
	global_load_dwordx2 v[9:10], v4, s[8:9] offset:56
	v_lshlrev_b32_e32 v4, 1, v18
	ds_read_b32 v22, v16
	ds_read_b32 v27, v6
	ds_read2_b32 v[13:14], v1 offset0:42 offset1:63
	ds_read_b32 v28, v1 offset:672
	ds_read2_b32 v[18:19], v1 offset0:126 offset1:147
	ds_read2_b32 v[20:21], v1 offset0:84 offset1:105
	s_waitcnt vmcnt(0) lgkmcnt(0)
	s_barrier
	v_lshlrev_b64 v[11:12], 2, v[4:5]
	v_lshlrev_b32_e32 v4, 1, v15
	buffer_gl0_inv
	v_lshlrev_b64 v[25:26], 2, v[4:5]
	v_lshlrev_b32_sdwa v4, v35, v30 dst_sel:DWORD dst_unused:UNUSED_PAD src0_sel:DWORD src1_sel:BYTE_0
	v_add_co_u32 v11, s0, s8, v11
	v_add_co_ci_u32_e64 v12, s0, s9, v12, s0
	v_add3_u32 v4, 0, v4, v17
	v_lshrrev_b32_e32 v15, 16, v22
	v_lshrrev_b32_e32 v17, 16, v27
	;; [unrolled: 1-line block ×9, first 2 shown]
	v_mul_f16_sdwa v36, v7, v31 dst_sel:DWORD dst_unused:UNUSED_PAD src0_sel:WORD_1 src1_sel:DWORD
	v_mul_f16_sdwa v37, v7, v14 dst_sel:DWORD dst_unused:UNUSED_PAD src0_sel:WORD_1 src1_sel:DWORD
	;; [unrolled: 1-line block ×10, first 2 shown]
	v_mul_f16_sdwa v46, v30, v10 dst_sel:DWORD dst_unused:UNUSED_PAD src0_sel:DWORD src1_sel:WORD_1
	v_mul_f16_sdwa v47, v28, v10 dst_sel:DWORD dst_unused:UNUSED_PAD src0_sel:DWORD src1_sel:WORD_1
	v_fmac_f16_e32 v36, v7, v14
	v_fma_f16 v14, v7, v31, -v37
	v_fmac_f16_e32 v38, v8, v18
	v_fma_f16 v18, v8, v32, -v39
	;; [unrolled: 2-line block ×6, first 2 shown]
	v_add_f16_e32 v20, v36, v38
	v_sub_f16_e32 v21, v14, v18
	v_add_f16_e32 v28, v15, v14
	v_add_f16_e32 v14, v14, v18
	v_add_f16_e32 v32, v40, v42
	v_sub_f16_e32 v33, v7, v8
	v_add_f16_e32 v34, v17, v7
	v_add_f16_e32 v7, v7, v8
	;; [unrolled: 1-line block ×3, first 2 shown]
	v_sub_f16_e32 v35, v40, v42
	v_add_f16_e32 v37, v44, v46
	v_sub_f16_e32 v39, v9, v10
	v_add_f16_e32 v40, v29, v9
	v_add_f16_e32 v9, v9, v10
	;; [unrolled: 1-line block ×3, first 2 shown]
	v_sub_f16_e32 v30, v36, v38
	v_fmac_f16_e32 v22, -0.5, v20
	v_fmac_f16_e32 v15, -0.5, v14
	v_add_f16_e32 v36, v13, v44
	v_fmac_f16_e32 v27, -0.5, v32
	v_fmac_f16_e32 v17, -0.5, v7
	v_sub_f16_e32 v41, v44, v46
	v_fmac_f16_e32 v13, -0.5, v37
	v_fmac_f16_e32 v29, -0.5, v9
	v_add_f16_e32 v19, v19, v38
	v_add_f16_e32 v18, v28, v18
	v_fmamk_f16 v9, v21, 0xbaee, v22
	v_fmamk_f16 v20, v30, 0x3aee, v15
	v_add_f16_e32 v14, v31, v42
	v_add_f16_e32 v8, v34, v8
	v_add_f16_e32 v7, v36, v46
	v_add_f16_e32 v10, v40, v10
	v_fmac_f16_e32 v22, 0x3aee, v21
	v_fmac_f16_e32 v15, 0xbaee, v30
	v_fmamk_f16 v21, v33, 0xbaee, v27
	v_fmac_f16_e32 v27, 0x3aee, v33
	v_fmamk_f16 v28, v35, 0x3aee, v17
	;; [unrolled: 2-line block ×3, first 2 shown]
	v_fmamk_f16 v31, v41, 0x3aee, v29
	v_fmac_f16_e32 v13, 0x3aee, v39
	v_fmac_f16_e32 v29, 0xbaee, v41
	v_pack_b32_f16 v18, v19, v18
	v_pack_b32_f16 v9, v9, v20
	;; [unrolled: 1-line block ×9, first 2 shown]
	ds_write2_b32 v1, v18, v9 offset1:21
	ds_write2_b32 v1, v10, v8 offset0:42 offset1:63
	ds_write2_b32 v1, v14, v15 offset0:84 offset1:105
	;; [unrolled: 1-line block ×3, first 2 shown]
	ds_write_b32 v4, v13 offset:672
	v_add_co_u32 v9, s0, s8, v25
	v_add_co_ci_u32_e64 v10, s0, s9, v26, s0
	s_waitcnt lgkmcnt(0)
	s_barrier
	buffer_gl0_inv
	s_clause 0x2
	global_load_dwordx2 v[7:8], v[23:24], off offset:224
	global_load_dwordx2 v[11:12], v[11:12], off offset:224
	;; [unrolled: 1-line block ×3, first 2 shown]
	ds_read_b32 v4, v16
	ds_read_b32 v15, v6
	ds_read2_b32 v[13:14], v1 offset0:42 offset1:63
	ds_read_b32 v21, v1 offset:672
	ds_read2_b32 v[17:18], v1 offset0:126 offset1:147
	ds_read2_b32 v[19:20], v1 offset0:84 offset1:105
	s_waitcnt vmcnt(0) lgkmcnt(0)
	s_barrier
	buffer_gl0_inv
	v_lshrrev_b32_e32 v22, 16, v4
	v_lshrrev_b32_e32 v23, 16, v15
	;; [unrolled: 1-line block ×9, first 2 shown]
	v_mul_f16_sdwa v31, v7, v26 dst_sel:DWORD dst_unused:UNUSED_PAD src0_sel:WORD_1 src1_sel:DWORD
	v_mul_f16_sdwa v32, v7, v14 dst_sel:DWORD dst_unused:UNUSED_PAD src0_sel:WORD_1 src1_sel:DWORD
	;; [unrolled: 1-line block ×10, first 2 shown]
	v_mul_f16_sdwa v41, v25, v10 dst_sel:DWORD dst_unused:UNUSED_PAD src0_sel:DWORD src1_sel:WORD_1
	v_mul_f16_sdwa v42, v21, v10 dst_sel:DWORD dst_unused:UNUSED_PAD src0_sel:DWORD src1_sel:WORD_1
	v_fmac_f16_e32 v31, v7, v14
	v_fma_f16 v7, v7, v26, -v32
	v_fmac_f16_e32 v33, v8, v17
	v_fma_f16 v8, v8, v27, -v34
	;; [unrolled: 2-line block ×6, first 2 shown]
	v_add_f16_e32 v14, v4, v31
	v_add_f16_e32 v17, v31, v33
	v_sub_f16_e32 v18, v7, v8
	v_add_f16_e32 v19, v22, v7
	v_add_f16_e32 v7, v7, v8
	;; [unrolled: 1-line block ×3, first 2 shown]
	v_sub_f16_e32 v26, v11, v12
	v_add_f16_e32 v27, v23, v11
	v_add_f16_e32 v11, v11, v12
	v_sub_f16_e32 v20, v31, v33
	v_add_f16_e32 v30, v39, v41
	v_sub_f16_e32 v31, v9, v10
	v_add_f16_e32 v32, v24, v9
	v_add_f16_e32 v9, v9, v10
	;; [unrolled: 1-line block ×3, first 2 shown]
	v_fmac_f16_e32 v4, -0.5, v17
	v_add_f16_e32 v8, v19, v8
	v_fmac_f16_e32 v22, -0.5, v7
	v_add_f16_e32 v21, v15, v35
	v_sub_f16_e32 v28, v35, v37
	v_fmac_f16_e32 v15, -0.5, v25
	v_fmac_f16_e32 v23, -0.5, v11
	v_add_f16_e32 v29, v13, v39
	v_sub_f16_e32 v34, v39, v41
	v_fmac_f16_e32 v13, -0.5, v30
	v_fmac_f16_e32 v24, -0.5, v9
	v_fmamk_f16 v9, v18, 0xbaee, v4
	v_fmamk_f16 v17, v20, 0x3aee, v22
	v_pack_b32_f16 v8, v14, v8
	v_fmac_f16_e32 v4, 0x3aee, v18
	v_fmac_f16_e32 v22, 0xbaee, v20
	v_add_f16_e32 v7, v21, v37
	v_add_f16_e32 v12, v27, v12
	v_fmamk_f16 v18, v26, 0xbaee, v15
	v_fmamk_f16 v19, v28, 0x3aee, v23
	v_add_f16_e32 v11, v29, v41
	v_add_f16_e32 v10, v32, v10
	v_fmac_f16_e32 v15, 0x3aee, v26
	v_fmac_f16_e32 v23, 0xbaee, v28
	v_fmamk_f16 v20, v31, 0xbaee, v13
	v_fmac_f16_e32 v13, 0x3aee, v31
	v_fmamk_f16 v14, v34, 0x3aee, v24
	v_fmac_f16_e32 v24, 0xbaee, v34
	ds_write_b32 v1, v8
	v_pack_b32_f16 v8, v9, v17
	v_pack_b32_f16 v4, v4, v22
	;; [unrolled: 1-line block ×8, first 2 shown]
	ds_write_b32 v1, v8 offset:252
	ds_write_b32 v1, v4 offset:504
	ds_write2_b32 v6, v7, v9 offset1:63
	ds_write_b32 v6, v11 offset:504
	ds_write_b32 v1, v10 offset:168
	;; [unrolled: 1-line block ×4, first 2 shown]
	s_waitcnt lgkmcnt(0)
	s_barrier
	buffer_gl0_inv
	s_and_saveexec_b32 s0, vcc_lo
	s_cbranch_execz .LBB0_16
; %bb.15:
	ds_read2_b32 v[6:7], v16 offset1:21
	v_mov_b32_e32 v1, v5
	ds_read2_b32 v[4:5], v16 offset0:42 offset1:63
	ds_read2_b32 v[8:9], v16 offset0:84 offset1:105
	;; [unrolled: 1-line block ×3, first 2 shown]
	ds_read_b32 v12, v16 offset:672
	v_add_co_u32 v2, vcc_lo, s2, v2
	v_add_co_ci_u32_e32 v3, vcc_lo, s3, v3, vcc_lo
	v_lshlrev_b64 v[0:1], 2, v[0:1]
	v_add_co_u32 v0, vcc_lo, v2, v0
	v_add_co_ci_u32_e32 v1, vcc_lo, v3, v1, vcc_lo
	s_waitcnt lgkmcnt(4)
	global_store_dword v[0:1], v6, off
	global_store_dword v[0:1], v7, off offset:84
	s_waitcnt lgkmcnt(3)
	global_store_dword v[0:1], v4, off offset:168
	global_store_dword v[0:1], v5, off offset:252
	s_waitcnt lgkmcnt(2)
	global_store_dword v[0:1], v8, off offset:336
	;; [unrolled: 3-line block ×4, first 2 shown]
.LBB0_16:
	s_endpgm
	.section	.rodata,"a",@progbits
	.p2align	6, 0x0
	.amdhsa_kernel fft_rtc_back_len189_factors_7_3_3_3_wgs_63_tpt_21_half_ip_CI_unitstride_sbrr_dirReg
		.amdhsa_group_segment_fixed_size 0
		.amdhsa_private_segment_fixed_size 0
		.amdhsa_kernarg_size 88
		.amdhsa_user_sgpr_count 6
		.amdhsa_user_sgpr_private_segment_buffer 1
		.amdhsa_user_sgpr_dispatch_ptr 0
		.amdhsa_user_sgpr_queue_ptr 0
		.amdhsa_user_sgpr_kernarg_segment_ptr 1
		.amdhsa_user_sgpr_dispatch_id 0
		.amdhsa_user_sgpr_flat_scratch_init 0
		.amdhsa_user_sgpr_private_segment_size 0
		.amdhsa_wavefront_size32 1
		.amdhsa_uses_dynamic_stack 0
		.amdhsa_system_sgpr_private_segment_wavefront_offset 0
		.amdhsa_system_sgpr_workgroup_id_x 1
		.amdhsa_system_sgpr_workgroup_id_y 0
		.amdhsa_system_sgpr_workgroup_id_z 0
		.amdhsa_system_sgpr_workgroup_info 0
		.amdhsa_system_vgpr_workitem_id 0
		.amdhsa_next_free_vgpr 50
		.amdhsa_next_free_sgpr 21
		.amdhsa_reserve_vcc 1
		.amdhsa_reserve_flat_scratch 0
		.amdhsa_float_round_mode_32 0
		.amdhsa_float_round_mode_16_64 0
		.amdhsa_float_denorm_mode_32 3
		.amdhsa_float_denorm_mode_16_64 3
		.amdhsa_dx10_clamp 1
		.amdhsa_ieee_mode 1
		.amdhsa_fp16_overflow 0
		.amdhsa_workgroup_processor_mode 1
		.amdhsa_memory_ordered 1
		.amdhsa_forward_progress 0
		.amdhsa_shared_vgpr_count 0
		.amdhsa_exception_fp_ieee_invalid_op 0
		.amdhsa_exception_fp_denorm_src 0
		.amdhsa_exception_fp_ieee_div_zero 0
		.amdhsa_exception_fp_ieee_overflow 0
		.amdhsa_exception_fp_ieee_underflow 0
		.amdhsa_exception_fp_ieee_inexact 0
		.amdhsa_exception_int_div_zero 0
	.end_amdhsa_kernel
	.text
.Lfunc_end0:
	.size	fft_rtc_back_len189_factors_7_3_3_3_wgs_63_tpt_21_half_ip_CI_unitstride_sbrr_dirReg, .Lfunc_end0-fft_rtc_back_len189_factors_7_3_3_3_wgs_63_tpt_21_half_ip_CI_unitstride_sbrr_dirReg
                                        ; -- End function
	.section	.AMDGPU.csdata,"",@progbits
; Kernel info:
; codeLenInByte = 5376
; NumSgprs: 23
; NumVgprs: 50
; ScratchSize: 0
; MemoryBound: 0
; FloatMode: 240
; IeeeMode: 1
; LDSByteSize: 0 bytes/workgroup (compile time only)
; SGPRBlocks: 2
; VGPRBlocks: 6
; NumSGPRsForWavesPerEU: 23
; NumVGPRsForWavesPerEU: 50
; Occupancy: 16
; WaveLimiterHint : 1
; COMPUTE_PGM_RSRC2:SCRATCH_EN: 0
; COMPUTE_PGM_RSRC2:USER_SGPR: 6
; COMPUTE_PGM_RSRC2:TRAP_HANDLER: 0
; COMPUTE_PGM_RSRC2:TGID_X_EN: 1
; COMPUTE_PGM_RSRC2:TGID_Y_EN: 0
; COMPUTE_PGM_RSRC2:TGID_Z_EN: 0
; COMPUTE_PGM_RSRC2:TIDIG_COMP_CNT: 0
	.text
	.p2alignl 6, 3214868480
	.fill 48, 4, 3214868480
	.type	__hip_cuid_8f5a7b614fb3b383,@object ; @__hip_cuid_8f5a7b614fb3b383
	.section	.bss,"aw",@nobits
	.globl	__hip_cuid_8f5a7b614fb3b383
__hip_cuid_8f5a7b614fb3b383:
	.byte	0                               ; 0x0
	.size	__hip_cuid_8f5a7b614fb3b383, 1

	.ident	"AMD clang version 19.0.0git (https://github.com/RadeonOpenCompute/llvm-project roc-6.4.0 25133 c7fe45cf4b819c5991fe208aaa96edf142730f1d)"
	.section	".note.GNU-stack","",@progbits
	.addrsig
	.addrsig_sym __hip_cuid_8f5a7b614fb3b383
	.amdgpu_metadata
---
amdhsa.kernels:
  - .args:
      - .actual_access:  read_only
        .address_space:  global
        .offset:         0
        .size:           8
        .value_kind:     global_buffer
      - .offset:         8
        .size:           8
        .value_kind:     by_value
      - .actual_access:  read_only
        .address_space:  global
        .offset:         16
        .size:           8
        .value_kind:     global_buffer
      - .actual_access:  read_only
        .address_space:  global
        .offset:         24
        .size:           8
        .value_kind:     global_buffer
      - .offset:         32
        .size:           8
        .value_kind:     by_value
      - .actual_access:  read_only
        .address_space:  global
        .offset:         40
        .size:           8
        .value_kind:     global_buffer
      - .actual_access:  read_only
        .address_space:  global
        .offset:         48
        .size:           8
        .value_kind:     global_buffer
      - .offset:         56
        .size:           4
        .value_kind:     by_value
      - .actual_access:  read_only
        .address_space:  global
        .offset:         64
        .size:           8
        .value_kind:     global_buffer
      - .actual_access:  read_only
        .address_space:  global
        .offset:         72
        .size:           8
        .value_kind:     global_buffer
      - .address_space:  global
        .offset:         80
        .size:           8
        .value_kind:     global_buffer
    .group_segment_fixed_size: 0
    .kernarg_segment_align: 8
    .kernarg_segment_size: 88
    .language:       OpenCL C
    .language_version:
      - 2
      - 0
    .max_flat_workgroup_size: 63
    .name:           fft_rtc_back_len189_factors_7_3_3_3_wgs_63_tpt_21_half_ip_CI_unitstride_sbrr_dirReg
    .private_segment_fixed_size: 0
    .sgpr_count:     23
    .sgpr_spill_count: 0
    .symbol:         fft_rtc_back_len189_factors_7_3_3_3_wgs_63_tpt_21_half_ip_CI_unitstride_sbrr_dirReg.kd
    .uniform_work_group_size: 1
    .uses_dynamic_stack: false
    .vgpr_count:     50
    .vgpr_spill_count: 0
    .wavefront_size: 32
    .workgroup_processor_mode: 1
amdhsa.target:   amdgcn-amd-amdhsa--gfx1030
amdhsa.version:
  - 1
  - 2
...

	.end_amdgpu_metadata
